;; amdgpu-corpus repo=ROCm/rocFFT kind=compiled arch=gfx1030 opt=O3
	.text
	.amdgcn_target "amdgcn-amd-amdhsa--gfx1030"
	.amdhsa_code_object_version 6
	.protected	fft_rtc_fwd_len875_factors_7_5_5_5_wgs_175_tpt_175_dp_ip_CI_unitstride_sbrr_dirReg ; -- Begin function fft_rtc_fwd_len875_factors_7_5_5_5_wgs_175_tpt_175_dp_ip_CI_unitstride_sbrr_dirReg
	.globl	fft_rtc_fwd_len875_factors_7_5_5_5_wgs_175_tpt_175_dp_ip_CI_unitstride_sbrr_dirReg
	.p2align	8
	.type	fft_rtc_fwd_len875_factors_7_5_5_5_wgs_175_tpt_175_dp_ip_CI_unitstride_sbrr_dirReg,@function
fft_rtc_fwd_len875_factors_7_5_5_5_wgs_175_tpt_175_dp_ip_CI_unitstride_sbrr_dirReg: ; @fft_rtc_fwd_len875_factors_7_5_5_5_wgs_175_tpt_175_dp_ip_CI_unitstride_sbrr_dirReg
; %bb.0:
	s_clause 0x2
	s_load_dwordx4 s[8:11], s[4:5], 0x0
	s_load_dwordx2 s[2:3], s[4:5], 0x50
	s_load_dwordx2 s[12:13], s[4:5], 0x18
	v_mul_u32_u24_e32 v1, 0x177, v0
	v_mov_b32_e32 v3, 0
	v_add_nc_u32_sdwa v5, s6, v1 dst_sel:DWORD dst_unused:UNUSED_PAD src0_sel:DWORD src1_sel:WORD_1
	v_mov_b32_e32 v1, 0
	v_mov_b32_e32 v6, v3
	v_mov_b32_e32 v2, 0
	s_waitcnt lgkmcnt(0)
	v_cmp_lt_u64_e64 s0, s[10:11], 2
	s_and_b32 vcc_lo, exec_lo, s0
	s_cbranch_vccnz .LBB0_8
; %bb.1:
	s_load_dwordx2 s[0:1], s[4:5], 0x10
	v_mov_b32_e32 v1, 0
	s_add_u32 s6, s12, 8
	v_mov_b32_e32 v2, 0
	s_addc_u32 s7, s13, 0
	s_mov_b64 s[16:17], 1
	s_waitcnt lgkmcnt(0)
	s_add_u32 s14, s0, 8
	s_addc_u32 s15, s1, 0
.LBB0_2:                                ; =>This Inner Loop Header: Depth=1
	s_load_dwordx2 s[18:19], s[14:15], 0x0
                                        ; implicit-def: $vgpr7_vgpr8
	s_mov_b32 s0, exec_lo
	s_waitcnt lgkmcnt(0)
	v_or_b32_e32 v4, s19, v6
	v_cmpx_ne_u64_e32 0, v[3:4]
	s_xor_b32 s1, exec_lo, s0
	s_cbranch_execz .LBB0_4
; %bb.3:                                ;   in Loop: Header=BB0_2 Depth=1
	v_cvt_f32_u32_e32 v4, s18
	v_cvt_f32_u32_e32 v7, s19
	s_sub_u32 s0, 0, s18
	s_subb_u32 s20, 0, s19
	v_fmac_f32_e32 v4, 0x4f800000, v7
	v_rcp_f32_e32 v4, v4
	v_mul_f32_e32 v4, 0x5f7ffffc, v4
	v_mul_f32_e32 v7, 0x2f800000, v4
	v_trunc_f32_e32 v7, v7
	v_fmac_f32_e32 v4, 0xcf800000, v7
	v_cvt_u32_f32_e32 v7, v7
	v_cvt_u32_f32_e32 v4, v4
	v_mul_lo_u32 v8, s0, v7
	v_mul_hi_u32 v9, s0, v4
	v_mul_lo_u32 v10, s20, v4
	v_add_nc_u32_e32 v8, v9, v8
	v_mul_lo_u32 v9, s0, v4
	v_add_nc_u32_e32 v8, v8, v10
	v_mul_hi_u32 v10, v4, v9
	v_mul_lo_u32 v11, v4, v8
	v_mul_hi_u32 v12, v4, v8
	v_mul_hi_u32 v13, v7, v9
	v_mul_lo_u32 v9, v7, v9
	v_mul_hi_u32 v14, v7, v8
	v_mul_lo_u32 v8, v7, v8
	v_add_co_u32 v10, vcc_lo, v10, v11
	v_add_co_ci_u32_e32 v11, vcc_lo, 0, v12, vcc_lo
	v_add_co_u32 v9, vcc_lo, v10, v9
	v_add_co_ci_u32_e32 v9, vcc_lo, v11, v13, vcc_lo
	v_add_co_ci_u32_e32 v10, vcc_lo, 0, v14, vcc_lo
	v_add_co_u32 v8, vcc_lo, v9, v8
	v_add_co_ci_u32_e32 v9, vcc_lo, 0, v10, vcc_lo
	v_add_co_u32 v4, vcc_lo, v4, v8
	v_add_co_ci_u32_e32 v7, vcc_lo, v7, v9, vcc_lo
	v_mul_hi_u32 v8, s0, v4
	v_mul_lo_u32 v10, s20, v4
	v_mul_lo_u32 v9, s0, v7
	v_add_nc_u32_e32 v8, v8, v9
	v_mul_lo_u32 v9, s0, v4
	v_add_nc_u32_e32 v8, v8, v10
	v_mul_hi_u32 v10, v4, v9
	v_mul_lo_u32 v11, v4, v8
	v_mul_hi_u32 v12, v4, v8
	v_mul_hi_u32 v13, v7, v9
	v_mul_lo_u32 v9, v7, v9
	v_mul_hi_u32 v14, v7, v8
	v_mul_lo_u32 v8, v7, v8
	v_add_co_u32 v10, vcc_lo, v10, v11
	v_add_co_ci_u32_e32 v11, vcc_lo, 0, v12, vcc_lo
	v_add_co_u32 v9, vcc_lo, v10, v9
	v_add_co_ci_u32_e32 v9, vcc_lo, v11, v13, vcc_lo
	v_add_co_ci_u32_e32 v10, vcc_lo, 0, v14, vcc_lo
	v_add_co_u32 v8, vcc_lo, v9, v8
	v_add_co_ci_u32_e32 v9, vcc_lo, 0, v10, vcc_lo
	v_add_co_u32 v4, vcc_lo, v4, v8
	v_add_co_ci_u32_e32 v11, vcc_lo, v7, v9, vcc_lo
	v_mul_hi_u32 v13, v5, v4
	v_mad_u64_u32 v[9:10], null, v6, v4, 0
	v_mad_u64_u32 v[7:8], null, v5, v11, 0
	;; [unrolled: 1-line block ×3, first 2 shown]
	v_add_co_u32 v4, vcc_lo, v13, v7
	v_add_co_ci_u32_e32 v7, vcc_lo, 0, v8, vcc_lo
	v_add_co_u32 v4, vcc_lo, v4, v9
	v_add_co_ci_u32_e32 v4, vcc_lo, v7, v10, vcc_lo
	v_add_co_ci_u32_e32 v7, vcc_lo, 0, v12, vcc_lo
	v_add_co_u32 v4, vcc_lo, v4, v11
	v_add_co_ci_u32_e32 v9, vcc_lo, 0, v7, vcc_lo
	v_mul_lo_u32 v10, s19, v4
	v_mad_u64_u32 v[7:8], null, s18, v4, 0
	v_mul_lo_u32 v11, s18, v9
	v_sub_co_u32 v7, vcc_lo, v5, v7
	v_add3_u32 v8, v8, v11, v10
	v_sub_nc_u32_e32 v10, v6, v8
	v_subrev_co_ci_u32_e64 v10, s0, s19, v10, vcc_lo
	v_add_co_u32 v11, s0, v4, 2
	v_add_co_ci_u32_e64 v12, s0, 0, v9, s0
	v_sub_co_u32 v13, s0, v7, s18
	v_sub_co_ci_u32_e32 v8, vcc_lo, v6, v8, vcc_lo
	v_subrev_co_ci_u32_e64 v10, s0, 0, v10, s0
	v_cmp_le_u32_e32 vcc_lo, s18, v13
	v_cmp_eq_u32_e64 s0, s19, v8
	v_cndmask_b32_e64 v13, 0, -1, vcc_lo
	v_cmp_le_u32_e32 vcc_lo, s19, v10
	v_cndmask_b32_e64 v14, 0, -1, vcc_lo
	v_cmp_le_u32_e32 vcc_lo, s18, v7
	;; [unrolled: 2-line block ×3, first 2 shown]
	v_cndmask_b32_e64 v15, 0, -1, vcc_lo
	v_cmp_eq_u32_e32 vcc_lo, s19, v10
	v_cndmask_b32_e64 v7, v15, v7, s0
	v_cndmask_b32_e32 v10, v14, v13, vcc_lo
	v_add_co_u32 v13, vcc_lo, v4, 1
	v_add_co_ci_u32_e32 v14, vcc_lo, 0, v9, vcc_lo
	v_cmp_ne_u32_e32 vcc_lo, 0, v10
	v_cndmask_b32_e32 v8, v14, v12, vcc_lo
	v_cndmask_b32_e32 v10, v13, v11, vcc_lo
	v_cmp_ne_u32_e32 vcc_lo, 0, v7
	v_cndmask_b32_e32 v8, v9, v8, vcc_lo
	v_cndmask_b32_e32 v7, v4, v10, vcc_lo
.LBB0_4:                                ;   in Loop: Header=BB0_2 Depth=1
	s_andn2_saveexec_b32 s0, s1
	s_cbranch_execz .LBB0_6
; %bb.5:                                ;   in Loop: Header=BB0_2 Depth=1
	v_cvt_f32_u32_e32 v4, s18
	s_sub_i32 s1, 0, s18
	v_rcp_iflag_f32_e32 v4, v4
	v_mul_f32_e32 v4, 0x4f7ffffe, v4
	v_cvt_u32_f32_e32 v4, v4
	v_mul_lo_u32 v7, s1, v4
	v_mul_hi_u32 v7, v4, v7
	v_add_nc_u32_e32 v4, v4, v7
	v_mul_hi_u32 v4, v5, v4
	v_mul_lo_u32 v7, v4, s18
	v_add_nc_u32_e32 v8, 1, v4
	v_sub_nc_u32_e32 v7, v5, v7
	v_subrev_nc_u32_e32 v9, s18, v7
	v_cmp_le_u32_e32 vcc_lo, s18, v7
	v_cndmask_b32_e32 v7, v7, v9, vcc_lo
	v_cndmask_b32_e32 v4, v4, v8, vcc_lo
	v_cmp_le_u32_e32 vcc_lo, s18, v7
	v_add_nc_u32_e32 v8, 1, v4
	v_cndmask_b32_e32 v7, v4, v8, vcc_lo
	v_mov_b32_e32 v8, v3
.LBB0_6:                                ;   in Loop: Header=BB0_2 Depth=1
	s_or_b32 exec_lo, exec_lo, s0
	s_load_dwordx2 s[0:1], s[6:7], 0x0
	v_mul_lo_u32 v4, v8, s18
	v_mul_lo_u32 v11, v7, s19
	v_mad_u64_u32 v[9:10], null, v7, s18, 0
	s_add_u32 s16, s16, 1
	s_addc_u32 s17, s17, 0
	s_add_u32 s6, s6, 8
	s_addc_u32 s7, s7, 0
	;; [unrolled: 2-line block ×3, first 2 shown]
	v_add3_u32 v4, v10, v11, v4
	v_sub_co_u32 v5, vcc_lo, v5, v9
	v_sub_co_ci_u32_e32 v4, vcc_lo, v6, v4, vcc_lo
	s_waitcnt lgkmcnt(0)
	v_mul_lo_u32 v6, s1, v5
	v_mul_lo_u32 v4, s0, v4
	v_mad_u64_u32 v[1:2], null, s0, v5, v[1:2]
	v_cmp_ge_u64_e64 s0, s[16:17], s[10:11]
	s_and_b32 vcc_lo, exec_lo, s0
	v_add3_u32 v2, v6, v2, v4
	s_cbranch_vccnz .LBB0_9
; %bb.7:                                ;   in Loop: Header=BB0_2 Depth=1
	v_mov_b32_e32 v5, v7
	v_mov_b32_e32 v6, v8
	s_branch .LBB0_2
.LBB0_8:
	v_mov_b32_e32 v8, v6
	v_mov_b32_e32 v7, v5
.LBB0_9:
	s_lshl_b64 s[0:1], s[10:11], 3
	v_mul_hi_u32 v3, 0x1767dcf, v0
	s_add_u32 s0, s12, s0
	s_addc_u32 s1, s13, s1
	v_mov_b32_e32 v30, 0
	s_load_dwordx2 s[0:1], s[0:1], 0x0
	s_load_dwordx2 s[4:5], s[4:5], 0x20
                                        ; implicit-def: $vgpr22_vgpr23
                                        ; implicit-def: $vgpr26_vgpr27
                                        ; implicit-def: $vgpr18_vgpr19
                                        ; implicit-def: $vgpr14_vgpr15
                                        ; implicit-def: $vgpr10_vgpr11
	s_waitcnt lgkmcnt(0)
	v_mul_lo_u32 v4, s0, v8
	v_mul_lo_u32 v5, s1, v7
	v_mad_u64_u32 v[28:29], null, s0, v7, v[1:2]
	v_mul_u32_u24_e32 v1, 0xaf, v3
	v_cmp_gt_u64_e32 vcc_lo, s[4:5], v[7:8]
                                        ; implicit-def: $vgpr6_vgpr7
                                        ; implicit-def: $vgpr2_vgpr3
	v_sub_nc_u32_e32 v31, v0, v1
	v_add3_u32 v29, v5, v29, v4
	s_and_saveexec_b32 s1, vcc_lo
	s_cbranch_execz .LBB0_13
; %bb.10:
	s_mov_b32 s4, exec_lo
                                        ; implicit-def: $vgpr0_vgpr1
                                        ; implicit-def: $vgpr4_vgpr5
                                        ; implicit-def: $vgpr8_vgpr9
                                        ; implicit-def: $vgpr12_vgpr13
                                        ; implicit-def: $vgpr16_vgpr17
                                        ; implicit-def: $vgpr24_vgpr25
                                        ; implicit-def: $vgpr20_vgpr21
	v_cmpx_gt_u32_e32 0x7d, v31
	s_cbranch_execz .LBB0_12
; %bb.11:
	v_mov_b32_e32 v32, 0
	v_lshlrev_b64 v[0:1], 4, v[28:29]
	v_lshlrev_b64 v[2:3], 4, v[31:32]
	v_add_co_u32 v0, s0, s2, v0
	v_add_co_ci_u32_e64 v1, s0, s3, v1, s0
	v_add_co_u32 v8, s0, v0, v2
	v_add_co_ci_u32_e64 v9, s0, v1, v3, s0
	s_clause 0x1
	global_load_dwordx4 v[0:3], v[8:9], off
	global_load_dwordx4 v[4:7], v[8:9], off offset:2000
	v_add_co_u32 v10, s0, 0x800, v8
	v_add_co_ci_u32_e64 v11, s0, 0, v9, s0
	v_add_co_u32 v12, s0, 0x1000, v8
	v_add_co_ci_u32_e64 v13, s0, 0, v9, s0
	;; [unrolled: 2-line block ×5, first 2 shown]
	s_clause 0x4
	global_load_dwordx4 v[8:11], v[10:11], off offset:1952
	global_load_dwordx4 v[12:15], v[12:13], off offset:1904
	;; [unrolled: 1-line block ×5, first 2 shown]
.LBB0_12:
	s_or_b32 exec_lo, exec_lo, s4
	v_mov_b32_e32 v30, v31
.LBB0_13:
	s_or_b32 exec_lo, exec_lo, s1
	s_mov_b32 s1, exec_lo
	v_cmpx_gt_u32_e32 0x7d, v31
	s_cbranch_execz .LBB0_15
; %bb.14:
	s_waitcnt vmcnt(0)
	v_add_f64 v[32:33], v[22:23], v[6:7]
	v_add_f64 v[34:35], v[26:27], v[10:11]
	v_add_f64 v[36:37], v[20:21], v[4:5]
	v_add_f64 v[38:39], v[24:25], v[8:9]
	v_add_f64 v[40:41], v[16:17], -v[12:13]
	v_add_f64 v[8:9], v[8:9], -v[24:25]
	v_add_f64 v[24:25], v[18:19], v[14:15]
	v_add_f64 v[14:15], v[18:19], -v[14:15]
	v_add_f64 v[10:11], v[10:11], -v[26:27]
	v_add_f64 v[12:13], v[16:17], v[12:13]
	v_add_f64 v[4:5], v[4:5], -v[20:21]
	v_add_f64 v[6:7], v[6:7], -v[22:23]
	s_mov_b32 s4, 0xe976ee23
	s_mov_b32 s5, 0xbfe11646
	;; [unrolled: 1-line block ×10, first 2 shown]
	v_add_f64 v[16:17], v[34:35], v[32:33]
	v_add_f64 v[18:19], v[38:39], v[36:37]
	v_add_f64 v[20:21], v[40:41], -v[8:9]
	v_add_f64 v[22:23], v[32:33], -v[24:25]
	;; [unrolled: 1-line block ×8, first 2 shown]
	v_add_f64 v[8:9], v[40:41], v[8:9]
	v_add_f64 v[40:41], v[6:7], -v[14:15]
	v_add_f64 v[10:11], v[14:15], v[10:11]
	v_add_f64 v[16:17], v[24:25], v[16:17]
	v_add_f64 v[24:25], v[24:25], -v[34:35]
	v_add_f64 v[18:19], v[12:13], v[18:19]
	v_add_f64 v[12:13], v[12:13], -v[38:39]
	v_mul_f64 v[20:21], v[20:21], s[4:5]
	v_mul_f64 v[22:23], v[22:23], s[6:7]
	v_add_f64 v[34:35], v[38:39], -v[36:37]
	v_mul_f64 v[26:27], v[26:27], s[4:5]
	s_mov_b32 s4, 0x36b3c0b5
	v_mul_f64 v[36:37], v[42:43], s[6:7]
	s_mov_b32 s5, 0x3fac98ee
	v_mul_f64 v[38:39], v[44:45], s[10:11]
	v_mul_f64 v[42:43], v[46:47], s[10:11]
	s_mov_b32 s7, 0x3fd5d0dc
	s_mov_b32 s6, 0xb247c609
	v_add_f64 v[4:5], v[8:9], v[4:5]
	v_add_f64 v[6:7], v[10:11], v[6:7]
	;; [unrolled: 1-line block ×3, first 2 shown]
	v_mul_f64 v[14:15], v[24:25], s[4:5]
	v_add_f64 v[0:1], v[0:1], v[18:19]
	v_mul_f64 v[50:51], v[12:13], s[4:5]
	v_fma_f64 v[8:9], v[48:49], s[6:7], v[20:21]
	v_fma_f64 v[24:25], v[24:25], s[4:5], v[22:23]
	v_fma_f64 v[22:23], v[32:33], s[14:15], -v[22:23]
	v_fma_f64 v[52:53], v[40:41], s[6:7], v[26:27]
	s_mov_b32 s7, 0xbfd5d0dc
	v_fma_f64 v[54:55], v[34:35], s[14:15], -v[36:37]
	s_mov_b32 s15, 0x3fe77f67
	v_fma_f64 v[12:13], v[12:13], s[4:5], v[36:37]
	v_fma_f64 v[20:21], v[44:45], s[10:11], -v[20:21]
	v_fma_f64 v[38:39], v[48:49], s[6:7], -v[38:39]
	s_mov_b32 s4, 0x37c3f68c
	s_mov_b32 s5, 0x3fdc38aa
	v_fma_f64 v[16:17], v[16:17], s[12:13], v[2:3]
	v_fma_f64 v[10:11], v[32:33], s[14:15], -v[14:15]
	v_fma_f64 v[18:19], v[18:19], s[12:13], v[0:1]
	v_fma_f64 v[14:15], v[46:47], s[10:11], -v[26:27]
	v_fma_f64 v[26:27], v[40:41], s[6:7], -v[42:43]
	;; [unrolled: 1-line block ×3, first 2 shown]
	v_fma_f64 v[8:9], v[4:5], s[4:5], v[8:9]
	v_fma_f64 v[34:35], v[6:7], s[4:5], v[52:53]
	;; [unrolled: 1-line block ×4, first 2 shown]
	v_add_f64 v[24:25], v[24:25], v[16:17]
	v_add_f64 v[22:23], v[22:23], v[16:17]
	;; [unrolled: 1-line block ×4, first 2 shown]
	v_fma_f64 v[38:39], v[6:7], s[4:5], v[26:27]
	v_add_f64 v[42:43], v[54:55], v[18:19]
	v_fma_f64 v[36:37], v[6:7], s[4:5], v[14:15]
	v_add_f64 v[12:13], v[32:33], v[18:19]
	v_mad_u32_u24 v32, 0x70, v31, 0
	v_add_f64 v[6:7], v[8:9], v[24:25]
	v_add_f64 v[26:27], v[24:25], -v[8:9]
	v_add_f64 v[24:25], v[34:35], v[40:41]
	v_add_f64 v[10:11], v[4:5], v[22:23]
	v_add_f64 v[14:15], v[16:17], -v[20:21]
	v_add_f64 v[18:19], v[20:21], v[16:17]
	v_add_f64 v[22:23], v[22:23], -v[4:5]
	;; [unrolled: 2-line block ×4, first 2 shown]
	v_add_f64 v[4:5], v[40:41], -v[34:35]
	ds_write_b128 v32, v[0:3]
	ds_write_b128 v32, v[24:27] offset:16
	ds_write_b128 v32, v[20:23] offset:32
	ds_write_b128 v32, v[16:19] offset:48
	ds_write_b128 v32, v[12:15] offset:64
	ds_write_b128 v32, v[8:11] offset:80
	ds_write_b128 v32, v[4:7] offset:96
.LBB0_15:
	s_or_b32 exec_lo, exec_lo, s1
	s_waitcnt vmcnt(1)
	v_and_b32_e32 v27, 0xff, v31
	v_mov_b32_e32 v59, 6
	s_waitcnt vmcnt(0) lgkmcnt(0)
	s_barrier
	buffer_gl0_inv
	v_mul_lo_u16 v0, v27, 37
	s_mov_b32 s0, 0x134454ff
	s_mov_b32 s1, 0x3fee6f0e
	;; [unrolled: 1-line block ×4, first 2 shown]
	v_lshrrev_b16 v0, 8, v0
	s_mov_b32 s6, 0x4755a5e
	s_mov_b32 s7, 0x3fe2cf23
	;; [unrolled: 1-line block ×4, first 2 shown]
	v_sub_nc_u16 v1, v31, v0
	s_mov_b32 s12, 0x372fe950
	s_mov_b32 s13, 0x3fd3c6ef
	v_mov_b32_e32 v61, 4
	v_lshrrev_b16 v1, 1, v1
	v_and_b32_e32 v1, 0x7f, v1
	v_add_nc_u16 v0, v1, v0
	v_lshrrev_b16 v58, 2, v0
	v_mul_lo_u16 v0, v58, 7
	v_sub_nc_u16 v60, v31, v0
	v_lshlrev_b32_sdwa v0, v59, v60 dst_sel:DWORD dst_unused:UNUSED_PAD src0_sel:DWORD src1_sel:BYTE_0
	s_clause 0x3
	global_load_dwordx4 v[1:4], v0, s[8:9]
	global_load_dwordx4 v[5:8], v0, s[8:9] offset:16
	global_load_dwordx4 v[9:12], v0, s[8:9] offset:32
	global_load_dwordx4 v[13:16], v0, s[8:9] offset:48
	v_lshl_add_u32 v0, v31, 4, 0
	ds_read_b128 v[17:20], v0 offset:2800
	ds_read_b128 v[21:24], v0 offset:5600
	ds_read_b128 v[32:35], v0 offset:8400
	ds_read_b128 v[36:39], v0 offset:11200
	s_waitcnt vmcnt(3) lgkmcnt(3)
	v_mul_f64 v[25:26], v[19:20], v[3:4]
	s_waitcnt vmcnt(2) lgkmcnt(2)
	v_mul_f64 v[40:41], v[23:24], v[7:8]
	;; [unrolled: 2-line block ×4, first 2 shown]
	v_mul_f64 v[7:8], v[21:22], v[7:8]
	v_mul_f64 v[11:12], v[32:33], v[11:12]
	;; [unrolled: 1-line block ×4, first 2 shown]
	v_fma_f64 v[17:18], v[17:18], v[1:2], -v[25:26]
	v_fma_f64 v[21:22], v[21:22], v[5:6], -v[40:41]
	;; [unrolled: 1-line block ×4, first 2 shown]
	v_fma_f64 v[5:6], v[23:24], v[5:6], v[7:8]
	v_fma_f64 v[7:8], v[34:35], v[9:10], v[11:12]
	v_fma_f64 v[19:20], v[19:20], v[1:2], v[3:4]
	v_fma_f64 v[9:10], v[38:39], v[13:14], v[15:16]
	ds_read_b128 v[1:4], v0
	s_waitcnt lgkmcnt(0)
	s_barrier
	buffer_gl0_inv
	v_add_f64 v[11:12], v[21:22], v[25:26]
	v_add_f64 v[13:14], v[17:18], v[32:33]
	v_add_f64 v[42:43], v[17:18], -v[32:33]
	v_add_f64 v[15:16], v[5:6], v[7:8]
	v_add_f64 v[34:35], v[1:2], v[17:18]
	;; [unrolled: 1-line block ×4, first 2 shown]
	v_add_f64 v[36:37], v[19:20], -v[9:10]
	v_add_f64 v[38:39], v[5:6], -v[7:8]
	;; [unrolled: 1-line block ×8, first 2 shown]
	v_fma_f64 v[11:12], v[11:12], -0.5, v[1:2]
	v_fma_f64 v[1:2], v[13:14], -0.5, v[1:2]
	v_add_f64 v[13:14], v[21:22], -v[25:26]
	v_fma_f64 v[15:16], v[15:16], -0.5, v[3:4]
	v_fma_f64 v[3:4], v[23:24], -0.5, v[3:4]
	v_add_f64 v[23:24], v[17:18], -v[21:22]
	v_add_f64 v[17:18], v[21:22], -v[17:18]
	v_add_f64 v[21:22], v[34:35], v[21:22]
	v_add_f64 v[5:6], v[40:41], v[5:6]
	;; [unrolled: 1-line block ×3, first 2 shown]
	v_fma_f64 v[34:35], v[36:37], s[0:1], v[11:12]
	v_fma_f64 v[40:41], v[38:39], s[4:5], v[1:2]
	;; [unrolled: 1-line block ×8, first 2 shown]
	v_add_f64 v[21:22], v[21:22], v[25:26]
	v_add_f64 v[5:6], v[5:6], v[7:8]
	;; [unrolled: 1-line block ×5, first 2 shown]
	v_fma_f64 v[7:8], v[38:39], s[6:7], v[34:35]
	v_fma_f64 v[25:26], v[36:37], s[6:7], v[40:41]
	;; [unrolled: 1-line block ×8, first 2 shown]
	v_mul_lo_u16 v1, 0xeb, v27
	v_add_f64 v[3:4], v[5:6], v[9:10]
	v_lshrrev_b16 v27, 13, v1
	v_add_f64 v[1:2], v[21:22], v[32:33]
	v_mov_b32_e32 v21, 0x230
	v_mul_lo_u16 v22, v27, 35
	v_mul_u32_u24_sdwa v21, v58, v21 dst_sel:DWORD dst_unused:UNUSED_PAD src0_sel:WORD_0 src1_sel:DWORD
	v_fma_f64 v[5:6], v[23:24], s[12:13], v[7:8]
	v_fma_f64 v[13:14], v[17:18], s[12:13], v[25:26]
	;; [unrolled: 1-line block ×8, first 2 shown]
	v_lshlrev_b32_sdwa v23, v61, v60 dst_sel:DWORD dst_unused:UNUSED_PAD src0_sel:DWORD src1_sel:BYTE_0
	v_sub_nc_u16 v58, v31, v22
	v_add3_u32 v21, 0, v21, v23
	v_lshlrev_b32_sdwa v22, v59, v58 dst_sel:DWORD dst_unused:UNUSED_PAD src0_sel:DWORD src1_sel:BYTE_0
	ds_write_b128 v21, v[1:4]
	ds_write_b128 v21, v[5:8] offset:112
	ds_write_b128 v21, v[13:16] offset:224
	;; [unrolled: 1-line block ×4, first 2 shown]
	s_waitcnt lgkmcnt(0)
	s_barrier
	buffer_gl0_inv
	s_clause 0x3
	global_load_dwordx4 v[1:4], v22, s[8:9] offset:448
	global_load_dwordx4 v[5:8], v22, s[8:9] offset:464
	;; [unrolled: 1-line block ×4, first 2 shown]
	ds_read_b128 v[17:20], v0 offset:2800
	ds_read_b128 v[21:24], v0 offset:5600
	;; [unrolled: 1-line block ×4, first 2 shown]
	s_waitcnt vmcnt(3) lgkmcnt(3)
	v_mul_f64 v[25:26], v[19:20], v[3:4]
	s_waitcnt vmcnt(2) lgkmcnt(2)
	v_mul_f64 v[40:41], v[23:24], v[7:8]
	;; [unrolled: 2-line block ×4, first 2 shown]
	v_mul_f64 v[7:8], v[21:22], v[7:8]
	v_mul_f64 v[11:12], v[32:33], v[11:12]
	v_mul_f64 v[3:4], v[17:18], v[3:4]
	v_mul_f64 v[15:16], v[36:37], v[15:16]
	v_fma_f64 v[17:18], v[17:18], v[1:2], -v[25:26]
	v_fma_f64 v[21:22], v[21:22], v[5:6], -v[40:41]
	;; [unrolled: 1-line block ×4, first 2 shown]
	v_fma_f64 v[5:6], v[23:24], v[5:6], v[7:8]
	v_fma_f64 v[7:8], v[34:35], v[9:10], v[11:12]
	;; [unrolled: 1-line block ×4, first 2 shown]
	ds_read_b128 v[1:4], v0
	s_waitcnt lgkmcnt(0)
	s_barrier
	buffer_gl0_inv
	v_add_f64 v[11:12], v[21:22], v[25:26]
	v_add_f64 v[13:14], v[17:18], v[32:33]
	v_add_f64 v[42:43], v[17:18], -v[32:33]
	v_add_f64 v[15:16], v[5:6], v[7:8]
	v_add_f64 v[34:35], v[1:2], v[17:18]
	;; [unrolled: 1-line block ×4, first 2 shown]
	v_add_f64 v[36:37], v[19:20], -v[9:10]
	v_add_f64 v[38:39], v[5:6], -v[7:8]
	;; [unrolled: 1-line block ×8, first 2 shown]
	v_fma_f64 v[11:12], v[11:12], -0.5, v[1:2]
	v_fma_f64 v[1:2], v[13:14], -0.5, v[1:2]
	v_add_f64 v[13:14], v[21:22], -v[25:26]
	v_fma_f64 v[15:16], v[15:16], -0.5, v[3:4]
	v_fma_f64 v[3:4], v[23:24], -0.5, v[3:4]
	v_add_f64 v[23:24], v[17:18], -v[21:22]
	v_add_f64 v[17:18], v[21:22], -v[17:18]
	v_add_f64 v[21:22], v[34:35], v[21:22]
	v_add_f64 v[5:6], v[40:41], v[5:6]
	;; [unrolled: 1-line block ×3, first 2 shown]
	v_fma_f64 v[34:35], v[36:37], s[0:1], v[11:12]
	v_fma_f64 v[40:41], v[38:39], s[4:5], v[1:2]
	;; [unrolled: 1-line block ×8, first 2 shown]
	v_add_f64 v[21:22], v[21:22], v[25:26]
	v_add_f64 v[5:6], v[5:6], v[7:8]
	;; [unrolled: 1-line block ×5, first 2 shown]
	v_fma_f64 v[7:8], v[38:39], s[6:7], v[34:35]
	v_fma_f64 v[25:26], v[36:37], s[6:7], v[40:41]
	;; [unrolled: 1-line block ×8, first 2 shown]
	v_add_f64 v[1:2], v[21:22], v[32:33]
	v_add_f64 v[3:4], v[5:6], v[9:10]
	v_mov_b32_e32 v21, 0xaf0
	v_lshlrev_b32_sdwa v22, v61, v58 dst_sel:DWORD dst_unused:UNUSED_PAD src0_sel:DWORD src1_sel:BYTE_0
	v_mul_u32_u24_sdwa v21, v27, v21 dst_sel:DWORD dst_unused:UNUSED_PAD src0_sel:WORD_0 src1_sel:DWORD
	v_add3_u32 v21, 0, v21, v22
	v_fma_f64 v[5:6], v[23:24], s[12:13], v[7:8]
	v_fma_f64 v[13:14], v[17:18], s[12:13], v[25:26]
	;; [unrolled: 1-line block ×8, first 2 shown]
	ds_write_b128 v21, v[1:4]
	ds_write_b128 v21, v[5:8] offset:560
	ds_write_b128 v21, v[13:16] offset:1120
	;; [unrolled: 1-line block ×4, first 2 shown]
	s_waitcnt lgkmcnt(0)
	s_barrier
	buffer_gl0_inv
	s_and_saveexec_b32 s14, vcc_lo
	s_cbranch_execz .LBB0_17
; %bb.16:
	v_lshlrev_b32_e32 v24, 2, v31
	v_mov_b32_e32 v25, 0
	v_lshlrev_b64 v[1:2], 4, v[24:25]
	v_add_co_u32 v3, vcc_lo, s8, v1
	v_add_co_ci_u32_e32 v4, vcc_lo, s9, v2, vcc_lo
	v_add_co_u32 v1, vcc_lo, 0x800, v3
	v_add_co_ci_u32_e32 v2, vcc_lo, 0, v4, vcc_lo
	;; [unrolled: 2-line block ×3, first 2 shown]
	s_clause 0x3
	global_load_dwordx4 v[1:4], v[1:2], off offset:640
	global_load_dwordx4 v[5:8], v[13:14], off offset:48
	;; [unrolled: 1-line block ×4, first 2 shown]
	ds_read_b128 v[17:20], v0 offset:2800
	ds_read_b128 v[21:24], v0 offset:11200
	;; [unrolled: 1-line block ×4, first 2 shown]
	ds_read_b128 v[39:42], v0
	s_waitcnt vmcnt(3) lgkmcnt(4)
	v_mul_f64 v[26:27], v[1:2], v[19:20]
	s_waitcnt vmcnt(2) lgkmcnt(3)
	v_mul_f64 v[43:44], v[5:6], v[23:24]
	;; [unrolled: 2-line block ×4, first 2 shown]
	v_mul_f64 v[19:20], v[3:4], v[19:20]
	v_mul_f64 v[23:24], v[7:8], v[23:24]
	;; [unrolled: 1-line block ×4, first 2 shown]
	v_fma_f64 v[3:4], v[3:4], v[17:18], v[26:27]
	v_fma_f64 v[7:8], v[7:8], v[21:22], v[43:44]
	;; [unrolled: 1-line block ×4, first 2 shown]
	v_fma_f64 v[0:1], v[17:18], v[1:2], -v[19:20]
	v_fma_f64 v[5:6], v[21:22], v[5:6], -v[23:24]
	;; [unrolled: 1-line block ×4, first 2 shown]
	s_waitcnt lgkmcnt(0)
	v_add_f64 v[31:32], v[3:4], v[41:42]
	v_add_f64 v[17:18], v[3:4], v[7:8]
	;; [unrolled: 1-line block ×5, first 2 shown]
	v_add_f64 v[35:36], v[0:1], -v[5:6]
	v_add_f64 v[23:24], v[9:10], v[13:14]
	v_add_f64 v[26:27], v[9:10], -v[13:14]
	v_add_f64 v[37:38], v[11:12], -v[15:16]
	;; [unrolled: 1-line block ×8, first 2 shown]
	v_fma_f64 v[17:18], v[17:18], -0.5, v[41:42]
	v_fma_f64 v[19:20], v[19:20], -0.5, v[41:42]
	v_add_f64 v[41:42], v[3:4], -v[7:8]
	v_fma_f64 v[21:22], v[21:22], -0.5, v[39:40]
	v_add_f64 v[9:10], v[9:10], v[33:34]
	v_fma_f64 v[23:24], v[23:24], -0.5, v[39:40]
	v_add_f64 v[39:40], v[11:12], -v[3:4]
	v_add_f64 v[2:3], v[3:4], -v[11:12]
	v_add_f64 v[11:12], v[11:12], v[31:32]
	v_fma_f64 v[31:32], v[26:27], s[4:5], v[17:18]
	v_fma_f64 v[17:18], v[26:27], s[0:1], v[17:18]
	;; [unrolled: 1-line block ×8, first 2 shown]
	v_add_f64 v[39:40], v[39:40], v[43:44]
	v_add_f64 v[43:44], v[2:3], v[45:46]
	;; [unrolled: 1-line block ×6, first 2 shown]
	v_lshlrev_b64 v[2:3], 4, v[28:29]
	v_add_co_u32 v28, vcc_lo, s2, v2
	v_fma_f64 v[11:12], v[35:36], s[6:7], v[31:32]
	v_fma_f64 v[13:14], v[35:36], s[10:11], v[17:18]
	;; [unrolled: 1-line block ×8, first 2 shown]
	v_mov_b32_e32 v31, v25
	v_add_co_ci_u32_e32 v29, vcc_lo, s3, v3, vcc_lo
	v_add_f64 v[2:3], v[7:8], v[0:1]
	v_lshlrev_b64 v[24:25], 4, v[30:31]
	v_add_f64 v[0:1], v[5:6], v[9:10]
	v_fma_f64 v[6:7], v[39:40], s[12:13], v[11:12]
	v_fma_f64 v[10:11], v[39:40], s[12:13], v[13:14]
	v_fma_f64 v[14:15], v[43:44], s[12:13], v[15:16]
	v_fma_f64 v[18:19], v[43:44], s[12:13], v[17:18]
	v_fma_f64 v[4:5], v[45:46], s[12:13], v[26:27]
	v_fma_f64 v[8:9], v[45:46], s[12:13], v[20:21]
	v_fma_f64 v[12:13], v[47:48], s[12:13], v[32:33]
	v_fma_f64 v[16:17], v[47:48], s[12:13], v[22:23]
	v_add_co_u32 v20, vcc_lo, v28, v24
	v_add_co_ci_u32_e32 v21, vcc_lo, v29, v25, vcc_lo
	v_add_co_u32 v22, vcc_lo, 0x800, v20
	v_add_co_ci_u32_e32 v23, vcc_lo, 0, v21, vcc_lo
	;; [unrolled: 2-line block ×5, first 2 shown]
	global_store_dwordx4 v[20:21], v[0:3], off
	global_store_dwordx4 v[22:23], v[16:19], off offset:752
	global_store_dwordx4 v[24:25], v[8:11], off offset:1504
	;; [unrolled: 1-line block ×4, first 2 shown]
.LBB0_17:
	s_endpgm
	.section	.rodata,"a",@progbits
	.p2align	6, 0x0
	.amdhsa_kernel fft_rtc_fwd_len875_factors_7_5_5_5_wgs_175_tpt_175_dp_ip_CI_unitstride_sbrr_dirReg
		.amdhsa_group_segment_fixed_size 0
		.amdhsa_private_segment_fixed_size 0
		.amdhsa_kernarg_size 88
		.amdhsa_user_sgpr_count 6
		.amdhsa_user_sgpr_private_segment_buffer 1
		.amdhsa_user_sgpr_dispatch_ptr 0
		.amdhsa_user_sgpr_queue_ptr 0
		.amdhsa_user_sgpr_kernarg_segment_ptr 1
		.amdhsa_user_sgpr_dispatch_id 0
		.amdhsa_user_sgpr_flat_scratch_init 0
		.amdhsa_user_sgpr_private_segment_size 0
		.amdhsa_wavefront_size32 1
		.amdhsa_uses_dynamic_stack 0
		.amdhsa_system_sgpr_private_segment_wavefront_offset 0
		.amdhsa_system_sgpr_workgroup_id_x 1
		.amdhsa_system_sgpr_workgroup_id_y 0
		.amdhsa_system_sgpr_workgroup_id_z 0
		.amdhsa_system_sgpr_workgroup_info 0
		.amdhsa_system_vgpr_workitem_id 0
		.amdhsa_next_free_vgpr 62
		.amdhsa_next_free_sgpr 21
		.amdhsa_reserve_vcc 1
		.amdhsa_reserve_flat_scratch 0
		.amdhsa_float_round_mode_32 0
		.amdhsa_float_round_mode_16_64 0
		.amdhsa_float_denorm_mode_32 3
		.amdhsa_float_denorm_mode_16_64 3
		.amdhsa_dx10_clamp 1
		.amdhsa_ieee_mode 1
		.amdhsa_fp16_overflow 0
		.amdhsa_workgroup_processor_mode 1
		.amdhsa_memory_ordered 1
		.amdhsa_forward_progress 0
		.amdhsa_shared_vgpr_count 0
		.amdhsa_exception_fp_ieee_invalid_op 0
		.amdhsa_exception_fp_denorm_src 0
		.amdhsa_exception_fp_ieee_div_zero 0
		.amdhsa_exception_fp_ieee_overflow 0
		.amdhsa_exception_fp_ieee_underflow 0
		.amdhsa_exception_fp_ieee_inexact 0
		.amdhsa_exception_int_div_zero 0
	.end_amdhsa_kernel
	.text
.Lfunc_end0:
	.size	fft_rtc_fwd_len875_factors_7_5_5_5_wgs_175_tpt_175_dp_ip_CI_unitstride_sbrr_dirReg, .Lfunc_end0-fft_rtc_fwd_len875_factors_7_5_5_5_wgs_175_tpt_175_dp_ip_CI_unitstride_sbrr_dirReg
                                        ; -- End function
	.section	.AMDGPU.csdata,"",@progbits
; Kernel info:
; codeLenInByte = 4940
; NumSgprs: 23
; NumVgprs: 62
; ScratchSize: 0
; MemoryBound: 1
; FloatMode: 240
; IeeeMode: 1
; LDSByteSize: 0 bytes/workgroup (compile time only)
; SGPRBlocks: 2
; VGPRBlocks: 7
; NumSGPRsForWavesPerEU: 23
; NumVGPRsForWavesPerEU: 62
; Occupancy: 15
; WaveLimiterHint : 1
; COMPUTE_PGM_RSRC2:SCRATCH_EN: 0
; COMPUTE_PGM_RSRC2:USER_SGPR: 6
; COMPUTE_PGM_RSRC2:TRAP_HANDLER: 0
; COMPUTE_PGM_RSRC2:TGID_X_EN: 1
; COMPUTE_PGM_RSRC2:TGID_Y_EN: 0
; COMPUTE_PGM_RSRC2:TGID_Z_EN: 0
; COMPUTE_PGM_RSRC2:TIDIG_COMP_CNT: 0
	.text
	.p2alignl 6, 3214868480
	.fill 48, 4, 3214868480
	.type	__hip_cuid_9914cc73df783fca,@object ; @__hip_cuid_9914cc73df783fca
	.section	.bss,"aw",@nobits
	.globl	__hip_cuid_9914cc73df783fca
__hip_cuid_9914cc73df783fca:
	.byte	0                               ; 0x0
	.size	__hip_cuid_9914cc73df783fca, 1

	.ident	"AMD clang version 19.0.0git (https://github.com/RadeonOpenCompute/llvm-project roc-6.4.0 25133 c7fe45cf4b819c5991fe208aaa96edf142730f1d)"
	.section	".note.GNU-stack","",@progbits
	.addrsig
	.addrsig_sym __hip_cuid_9914cc73df783fca
	.amdgpu_metadata
---
amdhsa.kernels:
  - .args:
      - .actual_access:  read_only
        .address_space:  global
        .offset:         0
        .size:           8
        .value_kind:     global_buffer
      - .offset:         8
        .size:           8
        .value_kind:     by_value
      - .actual_access:  read_only
        .address_space:  global
        .offset:         16
        .size:           8
        .value_kind:     global_buffer
      - .actual_access:  read_only
        .address_space:  global
        .offset:         24
        .size:           8
        .value_kind:     global_buffer
      - .offset:         32
        .size:           8
        .value_kind:     by_value
      - .actual_access:  read_only
        .address_space:  global
        .offset:         40
        .size:           8
        .value_kind:     global_buffer
      - .actual_access:  read_only
        .address_space:  global
        .offset:         48
        .size:           8
        .value_kind:     global_buffer
      - .offset:         56
        .size:           4
        .value_kind:     by_value
      - .actual_access:  read_only
        .address_space:  global
        .offset:         64
        .size:           8
        .value_kind:     global_buffer
      - .actual_access:  read_only
        .address_space:  global
        .offset:         72
        .size:           8
        .value_kind:     global_buffer
      - .address_space:  global
        .offset:         80
        .size:           8
        .value_kind:     global_buffer
    .group_segment_fixed_size: 0
    .kernarg_segment_align: 8
    .kernarg_segment_size: 88
    .language:       OpenCL C
    .language_version:
      - 2
      - 0
    .max_flat_workgroup_size: 175
    .name:           fft_rtc_fwd_len875_factors_7_5_5_5_wgs_175_tpt_175_dp_ip_CI_unitstride_sbrr_dirReg
    .private_segment_fixed_size: 0
    .sgpr_count:     23
    .sgpr_spill_count: 0
    .symbol:         fft_rtc_fwd_len875_factors_7_5_5_5_wgs_175_tpt_175_dp_ip_CI_unitstride_sbrr_dirReg.kd
    .uniform_work_group_size: 1
    .uses_dynamic_stack: false
    .vgpr_count:     62
    .vgpr_spill_count: 0
    .wavefront_size: 32
    .workgroup_processor_mode: 1
amdhsa.target:   amdgcn-amd-amdhsa--gfx1030
amdhsa.version:
  - 1
  - 2
...

	.end_amdgpu_metadata
